;; amdgpu-corpus repo=ROCm/rocFFT kind=compiled arch=gfx906 opt=O3
	.text
	.amdgcn_target "amdgcn-amd-amdhsa--gfx906"
	.amdhsa_code_object_version 6
	.protected	fft_rtc_fwd_len539_factors_11_7_7_wgs_231_tpt_77_halfLds_half_op_CI_CI_unitstride_sbrr_dirReg ; -- Begin function fft_rtc_fwd_len539_factors_11_7_7_wgs_231_tpt_77_halfLds_half_op_CI_CI_unitstride_sbrr_dirReg
	.globl	fft_rtc_fwd_len539_factors_11_7_7_wgs_231_tpt_77_halfLds_half_op_CI_CI_unitstride_sbrr_dirReg
	.p2align	8
	.type	fft_rtc_fwd_len539_factors_11_7_7_wgs_231_tpt_77_halfLds_half_op_CI_CI_unitstride_sbrr_dirReg,@function
fft_rtc_fwd_len539_factors_11_7_7_wgs_231_tpt_77_halfLds_half_op_CI_CI_unitstride_sbrr_dirReg: ; @fft_rtc_fwd_len539_factors_11_7_7_wgs_231_tpt_77_halfLds_half_op_CI_CI_unitstride_sbrr_dirReg
; %bb.0:
	v_mul_u32_u24_e32 v1, 0x354, v0
	s_load_dwordx4 s[8:11], s[4:5], 0x58
	s_load_dwordx4 s[12:15], s[4:5], 0x0
	;; [unrolled: 1-line block ×3, first 2 shown]
	v_lshrrev_b32_e32 v1, 16, v1
	v_mad_u64_u32 v[7:8], s[0:1], s6, 3, v[1:2]
	v_mov_b32_e32 v5, 0
	s_waitcnt lgkmcnt(0)
	v_cmp_lt_u64_e64 s[0:1], s[14:15], 2
	v_mov_b32_e32 v9, 0
	v_mov_b32_e32 v8, v5
	;; [unrolled: 1-line block ×5, first 2 shown]
	s_and_b64 vcc, exec, s[0:1]
	v_mov_b32_e32 v2, v10
	v_mov_b32_e32 v4, v8
	s_cbranch_vccnz .LBB0_8
; %bb.1:
	s_load_dwordx2 s[0:1], s[4:5], 0x10
	s_add_u32 s2, s18, 8
	s_addc_u32 s3, s19, 0
	s_add_u32 s6, s16, 8
	s_addc_u32 s7, s17, 0
	v_mov_b32_e32 v9, 0
	s_waitcnt lgkmcnt(0)
	s_add_u32 s20, s0, 8
	v_mov_b32_e32 v10, 0
	v_mov_b32_e32 v1, v9
	;; [unrolled: 1-line block ×3, first 2 shown]
	s_addc_u32 s21, s1, 0
	s_mov_b64 s[22:23], 1
	v_mov_b32_e32 v2, v10
	v_mov_b32_e32 v11, v7
.LBB0_2:                                ; =>This Inner Loop Header: Depth=1
	s_load_dwordx2 s[24:25], s[20:21], 0x0
                                        ; implicit-def: $vgpr3_vgpr4
	s_waitcnt lgkmcnt(0)
	v_or_b32_e32 v6, s25, v12
	v_cmp_ne_u64_e32 vcc, 0, v[5:6]
	s_and_saveexec_b64 s[0:1], vcc
	s_xor_b64 s[26:27], exec, s[0:1]
	s_cbranch_execz .LBB0_4
; %bb.3:                                ;   in Loop: Header=BB0_2 Depth=1
	v_cvt_f32_u32_e32 v3, s24
	v_cvt_f32_u32_e32 v4, s25
	s_sub_u32 s0, 0, s24
	s_subb_u32 s1, 0, s25
	v_mac_f32_e32 v3, 0x4f800000, v4
	v_rcp_f32_e32 v3, v3
	v_mul_f32_e32 v3, 0x5f7ffffc, v3
	v_mul_f32_e32 v4, 0x2f800000, v3
	v_trunc_f32_e32 v4, v4
	v_mac_f32_e32 v3, 0xcf800000, v4
	v_cvt_u32_f32_e32 v4, v4
	v_cvt_u32_f32_e32 v3, v3
	v_mul_lo_u32 v6, s0, v4
	v_mul_hi_u32 v8, s0, v3
	v_mul_lo_u32 v14, s1, v3
	v_mul_lo_u32 v13, s0, v3
	v_add_u32_e32 v6, v8, v6
	v_add_u32_e32 v6, v6, v14
	v_mul_hi_u32 v8, v3, v13
	v_mul_lo_u32 v14, v3, v6
	v_mul_hi_u32 v16, v3, v6
	v_mul_hi_u32 v15, v4, v13
	v_mul_lo_u32 v13, v4, v13
	v_mul_hi_u32 v17, v4, v6
	v_add_co_u32_e32 v8, vcc, v8, v14
	v_addc_co_u32_e32 v14, vcc, 0, v16, vcc
	v_mul_lo_u32 v6, v4, v6
	v_add_co_u32_e32 v8, vcc, v8, v13
	v_addc_co_u32_e32 v8, vcc, v14, v15, vcc
	v_addc_co_u32_e32 v13, vcc, 0, v17, vcc
	v_add_co_u32_e32 v6, vcc, v8, v6
	v_addc_co_u32_e32 v8, vcc, 0, v13, vcc
	v_add_co_u32_e32 v3, vcc, v3, v6
	v_addc_co_u32_e32 v4, vcc, v4, v8, vcc
	v_mul_lo_u32 v6, s0, v4
	v_mul_hi_u32 v8, s0, v3
	v_mul_lo_u32 v13, s1, v3
	v_mul_lo_u32 v14, s0, v3
	v_add_u32_e32 v6, v8, v6
	v_add_u32_e32 v6, v6, v13
	v_mul_lo_u32 v15, v3, v6
	v_mul_hi_u32 v16, v3, v14
	v_mul_hi_u32 v17, v3, v6
	;; [unrolled: 1-line block ×3, first 2 shown]
	v_mul_lo_u32 v14, v4, v14
	v_mul_hi_u32 v8, v4, v6
	v_add_co_u32_e32 v15, vcc, v16, v15
	v_addc_co_u32_e32 v16, vcc, 0, v17, vcc
	v_mul_lo_u32 v6, v4, v6
	v_add_co_u32_e32 v14, vcc, v15, v14
	v_addc_co_u32_e32 v13, vcc, v16, v13, vcc
	v_addc_co_u32_e32 v8, vcc, 0, v8, vcc
	v_add_co_u32_e32 v6, vcc, v13, v6
	v_addc_co_u32_e32 v8, vcc, 0, v8, vcc
	v_add_co_u32_e32 v6, vcc, v3, v6
	v_addc_co_u32_e32 v8, vcc, v4, v8, vcc
	v_mad_u64_u32 v[3:4], s[0:1], v11, v8, 0
	v_mul_hi_u32 v13, v11, v6
	v_add_co_u32_e32 v15, vcc, v13, v3
	v_addc_co_u32_e32 v16, vcc, 0, v4, vcc
	v_mad_u64_u32 v[3:4], s[0:1], v12, v6, 0
	v_mad_u64_u32 v[13:14], s[0:1], v12, v8, 0
	v_add_co_u32_e32 v3, vcc, v15, v3
	v_addc_co_u32_e32 v3, vcc, v16, v4, vcc
	v_addc_co_u32_e32 v4, vcc, 0, v14, vcc
	v_add_co_u32_e32 v6, vcc, v3, v13
	v_addc_co_u32_e32 v8, vcc, 0, v4, vcc
	v_mul_lo_u32 v13, s25, v6
	v_mul_lo_u32 v14, s24, v8
	v_mad_u64_u32 v[3:4], s[0:1], s24, v6, 0
	v_add3_u32 v4, v4, v14, v13
	v_sub_u32_e32 v13, v12, v4
	v_mov_b32_e32 v14, s25
	v_sub_co_u32_e32 v3, vcc, v11, v3
	v_subb_co_u32_e64 v13, s[0:1], v13, v14, vcc
	v_subrev_co_u32_e64 v14, s[0:1], s24, v3
	v_subbrev_co_u32_e64 v13, s[0:1], 0, v13, s[0:1]
	v_cmp_le_u32_e64 s[0:1], s25, v13
	v_cndmask_b32_e64 v15, 0, -1, s[0:1]
	v_cmp_le_u32_e64 s[0:1], s24, v14
	v_cndmask_b32_e64 v14, 0, -1, s[0:1]
	v_cmp_eq_u32_e64 s[0:1], s25, v13
	v_cndmask_b32_e64 v13, v15, v14, s[0:1]
	v_add_co_u32_e64 v14, s[0:1], 2, v6
	v_addc_co_u32_e64 v15, s[0:1], 0, v8, s[0:1]
	v_add_co_u32_e64 v16, s[0:1], 1, v6
	v_addc_co_u32_e64 v17, s[0:1], 0, v8, s[0:1]
	v_subb_co_u32_e32 v4, vcc, v12, v4, vcc
	v_cmp_ne_u32_e64 s[0:1], 0, v13
	v_cmp_le_u32_e32 vcc, s25, v4
	v_cndmask_b32_e64 v13, v17, v15, s[0:1]
	v_cndmask_b32_e64 v15, 0, -1, vcc
	v_cmp_le_u32_e32 vcc, s24, v3
	v_cndmask_b32_e64 v3, 0, -1, vcc
	v_cmp_eq_u32_e32 vcc, s25, v4
	v_cndmask_b32_e32 v3, v15, v3, vcc
	v_cmp_ne_u32_e32 vcc, 0, v3
	v_cndmask_b32_e64 v3, v16, v14, s[0:1]
	v_cndmask_b32_e32 v4, v8, v13, vcc
	v_cndmask_b32_e32 v3, v6, v3, vcc
.LBB0_4:                                ;   in Loop: Header=BB0_2 Depth=1
	s_andn2_saveexec_b64 s[0:1], s[26:27]
	s_cbranch_execz .LBB0_6
; %bb.5:                                ;   in Loop: Header=BB0_2 Depth=1
	v_cvt_f32_u32_e32 v3, s24
	s_sub_i32 s26, 0, s24
	v_rcp_iflag_f32_e32 v3, v3
	v_mul_f32_e32 v3, 0x4f7ffffe, v3
	v_cvt_u32_f32_e32 v3, v3
	v_mul_lo_u32 v4, s26, v3
	v_mul_hi_u32 v4, v3, v4
	v_add_u32_e32 v3, v3, v4
	v_mul_hi_u32 v3, v11, v3
	v_mul_lo_u32 v4, v3, s24
	v_add_u32_e32 v6, 1, v3
	v_sub_u32_e32 v4, v11, v4
	v_subrev_u32_e32 v8, s24, v4
	v_cmp_le_u32_e32 vcc, s24, v4
	v_cndmask_b32_e32 v4, v4, v8, vcc
	v_cndmask_b32_e32 v3, v3, v6, vcc
	v_add_u32_e32 v6, 1, v3
	v_cmp_le_u32_e32 vcc, s24, v4
	v_cndmask_b32_e32 v3, v3, v6, vcc
	v_mov_b32_e32 v4, v5
.LBB0_6:                                ;   in Loop: Header=BB0_2 Depth=1
	s_or_b64 exec, exec, s[0:1]
	v_mul_lo_u32 v6, v4, s24
	v_mul_lo_u32 v8, v3, s25
	v_mad_u64_u32 v[13:14], s[0:1], v3, s24, 0
	s_load_dwordx2 s[0:1], s[6:7], 0x0
	s_load_dwordx2 s[24:25], s[2:3], 0x0
	v_add3_u32 v6, v14, v8, v6
	v_sub_co_u32_e32 v8, vcc, v11, v13
	v_subb_co_u32_e32 v6, vcc, v12, v6, vcc
	s_waitcnt lgkmcnt(0)
	v_mul_lo_u32 v11, s0, v6
	v_mul_lo_u32 v12, s1, v8
	v_mad_u64_u32 v[9:10], s[0:1], s0, v8, v[9:10]
	s_add_u32 s22, s22, 1
	s_addc_u32 s23, s23, 0
	s_add_u32 s2, s2, 8
	v_mul_lo_u32 v6, s24, v6
	v_mul_lo_u32 v13, s25, v8
	v_mad_u64_u32 v[1:2], s[0:1], s24, v8, v[1:2]
	v_add3_u32 v10, v12, v10, v11
	s_addc_u32 s3, s3, 0
	v_mov_b32_e32 v11, s14
	s_add_u32 s6, s6, 8
	v_mov_b32_e32 v12, s15
	s_addc_u32 s7, s7, 0
	v_cmp_ge_u64_e32 vcc, s[22:23], v[11:12]
	s_add_u32 s20, s20, 8
	v_add3_u32 v2, v13, v2, v6
	s_addc_u32 s21, s21, 0
	s_cbranch_vccnz .LBB0_8
; %bb.7:                                ;   in Loop: Header=BB0_2 Depth=1
	v_mov_b32_e32 v12, v4
	v_mov_b32_e32 v11, v3
	s_branch .LBB0_2
.LBB0_8:
	s_lshl_b64 s[14:15], s[14:15], 3
	s_load_dwordx2 s[0:1], s[4:5], 0x28
	s_add_u32 s2, s18, s14
	s_mov_b32 s3, 0x3531ded
	v_mul_hi_u32 v5, v0, s3
	s_addc_u32 s3, s19, s15
	s_load_dwordx2 s[2:3], s[2:3], 0x0
	s_waitcnt lgkmcnt(0)
	v_cmp_gt_u64_e32 vcc, s[0:1], v[3:4]
	v_mul_u32_u24_e32 v5, 0x4d, v5
	v_sub_u32_e32 v5, v0, v5
	v_mov_b32_e32 v8, 0
	v_mov_b32_e32 v27, 0
	;; [unrolled: 1-line block ×3, first 2 shown]
                                        ; implicit-def: $vgpr29
                                        ; implicit-def: $vgpr16
                                        ; implicit-def: $vgpr26
                                        ; implicit-def: $vgpr15
                                        ; implicit-def: $vgpr24
                                        ; implicit-def: $vgpr14
                                        ; implicit-def: $vgpr21
                                        ; implicit-def: $vgpr12
                                        ; implicit-def: $vgpr19
                                        ; implicit-def: $vgpr11
                                        ; implicit-def: $vgpr31
                                        ; implicit-def: $vgpr28
                                        ; implicit-def: $vgpr30
                                        ; implicit-def: $vgpr22
                                        ; implicit-def: $vgpr25
                                        ; implicit-def: $vgpr18
                                        ; implicit-def: $vgpr23
                                        ; implicit-def: $vgpr17
                                        ; implicit-def: $vgpr20
                                        ; implicit-def: $vgpr13
	s_and_saveexec_b64 s[4:5], vcc
	s_cbranch_execz .LBB0_12
; %bb.9:
	v_cmp_gt_u32_e64 s[0:1], 49, v5
	v_mov_b32_e32 v27, 0
	v_mov_b32_e32 v8, 0
                                        ; implicit-def: $vgpr13
                                        ; implicit-def: $vgpr20
                                        ; implicit-def: $vgpr17
                                        ; implicit-def: $vgpr23
                                        ; implicit-def: $vgpr18
                                        ; implicit-def: $vgpr25
                                        ; implicit-def: $vgpr22
                                        ; implicit-def: $vgpr30
                                        ; implicit-def: $vgpr28
                                        ; implicit-def: $vgpr31
                                        ; implicit-def: $vgpr11
                                        ; implicit-def: $vgpr19
                                        ; implicit-def: $vgpr12
                                        ; implicit-def: $vgpr21
                                        ; implicit-def: $vgpr14
                                        ; implicit-def: $vgpr24
                                        ; implicit-def: $vgpr15
                                        ; implicit-def: $vgpr26
                                        ; implicit-def: $vgpr16
                                        ; implicit-def: $vgpr29
	s_and_saveexec_b64 s[6:7], s[0:1]
	s_cbranch_execz .LBB0_11
; %bb.10:
	s_add_u32 s0, s16, s14
	s_addc_u32 s1, s17, s15
	s_load_dwordx2 s[0:1], s[0:1], 0x0
	v_mov_b32_e32 v13, s9
	v_mov_b32_e32 v6, 0
	s_waitcnt lgkmcnt(0)
	v_mul_lo_u32 v0, s1, v3
	v_mul_lo_u32 v8, s0, v4
	v_mad_u64_u32 v[11:12], s[0:1], s0, v3, 0
	v_add3_u32 v12, v12, v8, v0
	v_lshlrev_b64 v[11:12], 2, v[11:12]
	v_lshlrev_b64 v[8:9], 2, v[9:10]
	v_add_co_u32_e64 v0, s[0:1], s8, v11
	v_addc_co_u32_e64 v11, s[0:1], v13, v12, s[0:1]
	v_add_co_u32_e64 v0, s[0:1], v0, v8
	v_addc_co_u32_e64 v10, s[0:1], v11, v9, s[0:1]
	v_lshlrev_b64 v[8:9], 2, v[5:6]
	v_add_co_u32_e64 v8, s[0:1], v0, v8
	v_addc_co_u32_e64 v9, s[0:1], v10, v9, s[0:1]
	global_load_dword v27, v[8:9], off
	global_load_dword v16, v[8:9], off offset:196
	global_load_dword v15, v[8:9], off offset:392
	;; [unrolled: 1-line block ×10, first 2 shown]
	s_waitcnt vmcnt(10)
	v_lshrrev_b32_e32 v8, 16, v27
	s_waitcnt vmcnt(9)
	v_lshrrev_b32_e32 v29, 16, v16
	;; [unrolled: 2-line block ×11, first 2 shown]
.LBB0_11:
	s_or_b64 exec, exec, s[6:7]
	v_mov_b32_e32 v6, v5
.LBB0_12:
	s_or_b64 exec, exec, s[4:5]
	s_mov_b32 s0, 0xaaaaaaab
	v_mul_hi_u32 v0, v7, s0
	v_cmp_gt_u32_e64 s[0:1], 49, v5
	v_lshrrev_b32_e32 v0, 1, v0
	v_lshl_add_u32 v0, v0, 1, v0
	v_sub_u32_e32 v0, v7, v0
	v_mul_u32_u24_e32 v0, 0x21b, v0
	v_lshlrev_b32_e32 v0, 1, v0
	s_and_saveexec_b64 s[4:5], s[0:1]
	s_cbranch_execz .LBB0_14
; %bb.13:
	v_sub_f16_e32 v9, v29, v31
	v_add_f16_e32 v7, v16, v28
	s_mov_b32 s6, 0xbbad
	v_mul_f16_e32 v10, 0xb482, v9
	v_sub_f16_e32 v37, v26, v30
	s_movk_i32 s7, 0x3abb
	v_fma_f16 v32, v7, s6, -v10
	v_add_f16_e32 v36, v15, v22
	v_mul_f16_e32 v33, 0x3853, v37
	v_add_f16_e32 v32, v27, v32
	v_fma_f16 v34, v36, s7, -v33
	v_sub_f16_e32 v39, v24, v25
	v_add_f16_e32 v32, v32, v34
	s_mov_b32 s8, 0xb93d
	v_add_f16_e32 v38, v14, v18
	v_mul_f16_e32 v34, 0xba0c, v39
	v_fma_f16 v35, v38, s8, -v34
	v_sub_f16_e32 v41, v21, v23
	v_add_f16_e32 v32, v32, v35
	s_movk_i32 s9, 0x36a6
	v_add_f16_e32 v40, v12, v17
	v_mul_f16_e32 v35, 0x3b47, v41
	v_fma_f16 v42, v40, s9, -v35
	v_sub_f16_e32 v43, v19, v20
	v_add_f16_e32 v32, v32, v42
	s_mov_b32 s14, 0xb08e
	v_add_f16_e32 v42, v11, v13
	v_mul_f16_e32 v44, 0xbbeb, v43
	v_fma_f16 v45, v42, s14, -v44
	s_mov_b32 s16, 0xbb47b853
	v_add_f16_e32 v32, v32, v45
	s_mov_b32 s15, 0x36a63abb
	s_mov_b32 s18, 0xba0cbb47
	v_pk_mul_f16 v45, v9, s16 op_sel_hi:[0,1]
	s_mov_b32 s17, 0xb93d36a6
	v_pk_fma_f16 v46, v7, s15, v45 op_sel_hi:[0,1,1] neg_lo:[0,0,1] neg_hi:[0,0,1]
	v_pk_mul_f16 v47, v37, s18 op_sel_hi:[0,1]
	v_pk_add_f16 v46, v27, v46 op_sel_hi:[0,1]
	v_pk_fma_f16 v48, v36, s17, v47 op_sel_hi:[0,1,1] neg_lo:[0,0,1] neg_hi:[0,0,1]
	s_mov_b32 s16, 0x3482bbeb
	v_pk_add_f16 v46, v46, v48
	s_mov_b32 s15, 0xbbadb08e
	v_pk_mul_f16 v48, v39, s16 op_sel_hi:[0,1]
	v_pk_fma_f16 v49, v38, s15, v48 op_sel_hi:[0,1,1] neg_lo:[0,0,1] neg_hi:[0,0,1]
	s_mov_b32 s16, 0x3bebba0c
	v_pk_add_f16 v46, v46, v49
	s_mov_b32 s15, 0xb08eb93d
	v_pk_mul_f16 v49, v41, s16 op_sel_hi:[0,1]
	;; [unrolled: 5-line block ×3, first 2 shown]
	v_pk_fma_f16 v51, v42, s15, v50 op_sel_hi:[0,1,1] neg_lo:[0,0,1] neg_hi:[0,0,1]
	s_mov_b32 s16, 0xba0cbbeb
	v_pk_add_f16 v46, v46, v51
	s_mov_b32 s15, 0xb93db08e
	s_mov_b32 s18, 0x3beb3482
	v_pk_mul_f16 v51, v9, s16 op_sel_hi:[0,1]
	s_mov_b32 s17, 0xb08ebbad
	v_pk_fma_f16 v52, v7, s15, v51 op_sel_hi:[0,1,1] neg_lo:[0,0,1] neg_hi:[0,0,1]
	v_pk_mul_f16 v53, v37, s18 op_sel_hi:[0,1]
	v_pk_add_f16 v52, v27, v52 op_sel_hi:[0,1]
	v_pk_fma_f16 v54, v36, s17, v53 op_sel_hi:[0,1,1] neg_lo:[0,0,1] neg_hi:[0,0,1]
	s_mov_b32 s18, 0xb8533b47
	v_pk_add_f16 v52, v52, v54
	s_mov_b32 s16, 0x3abb36a6
	v_pk_mul_f16 v54, v39, s18 op_sel_hi:[0,1]
	v_pk_fma_f16 v55, v38, s16, v54 op_sel_hi:[0,1,1] neg_lo:[0,0,1] neg_hi:[0,0,1]
	s_mov_b32 s19, 0xb482b853
	v_pk_add_f16 v52, v52, v55
	s_mov_b32 s18, 0xbbad3abb
	v_pk_mul_f16 v55, v41, s19 op_sel_hi:[0,1]
	;; [unrolled: 5-line block ×3, first 2 shown]
	v_pk_fma_f16 v57, v42, s19, v56 op_sel_hi:[0,1,1] neg_lo:[0,0,1] neg_hi:[0,0,1]
	s_mov_b32 s20, 0xffff
	v_pk_add_f16 v52, v52, v57
	v_bfi_b32 v10, s20, v10, v51
	v_mul_f16_e32 v51, 0xbbad, v7
	v_pk_mul_f16 v57, v7, s15 op_sel_hi:[0,1]
	v_bfi_b32 v51, s20, v51, v57
	v_pk_add_f16 v10, v10, v51
	v_bfi_b32 v33, s20, v33, v53
	v_mul_f16_e32 v51, 0x3abb, v36
	v_pk_mul_f16 v53, v36, s17 op_sel_hi:[0,1]
	v_bfi_b32 v51, s20, v51, v53
	v_pk_add_f16 v33, v33, v51
	v_pk_add_f16 v10, v27, v10 op_sel_hi:[0,1]
	v_pk_add_f16 v10, v10, v33
	v_bfi_b32 v33, s20, v34, v54
	v_mul_f16_e32 v34, 0xb93d, v38
	v_pk_mul_f16 v51, v38, s16 op_sel_hi:[0,1]
	v_bfi_b32 v34, s20, v34, v51
	v_pk_add_f16 v33, v33, v34
	v_pk_add_f16 v10, v10, v33
	v_bfi_b32 v33, s20, v35, v55
	v_mul_f16_e32 v34, 0x36a6, v40
	v_pk_mul_f16 v35, v40, s18 op_sel_hi:[0,1]
	v_bfi_b32 v34, s20, v34, v35
	v_pk_add_f16 v33, v33, v34
	v_mul_f16_e32 v34, 0xb08e, v42
	v_pk_mul_f16 v35, v42, s19 op_sel_hi:[0,1]
	v_pk_add_f16 v10, v10, v33
	v_bfi_b32 v33, s20, v44, v56
	v_bfi_b32 v34, s20, v34, v35
	v_pk_add_f16 v33, v33, v34
	v_pk_add_f16 v35, v10, v33
	v_add_f16_e32 v10, v27, v16
	v_add_f16_e32 v10, v10, v15
	;; [unrolled: 1-line block ×10, first 2 shown]
	v_alignbit_b32 v34, v32, v52, 16
	v_pack_b32_f16 v32, v10, v46
	v_mul_u32_u24_e32 v10, 22, v5
	v_alignbit_b32 v33, v52, v46, 16
	v_add3_u32 v10, 0, v10, v0
	ds_write_b128 v10, v[32:35]
	v_fma_f16 v32, v7, s7, v45
	v_add_f16_e32 v32, v27, v32
	v_fma_f16 v33, v36, s9, v47
	v_add_f16_e32 v32, v32, v33
	;; [unrolled: 2-line block ×3, first 2 shown]
	v_fma_f16 v33, v40, s8, v49
	s_mov_b32 s7, 0x36a6b08e
	v_add_f16_e32 v32, v32, v33
	v_fma_f16 v33, v42, s6, v50
	s_mov_b32 s6, 0xbb47bbeb
	v_pk_mul_f16 v7, v7, s7 op_sel_hi:[0,1]
	s_mov_b32 s7, 0xb93dbbad
	v_pk_fma_f16 v7, v9, s6, v7 op_sel_hi:[0,1,1]
	s_mov_b32 s6, 0xba0c3482
	v_pk_mul_f16 v9, v36, s7 op_sel_hi:[0,1]
	v_pk_add_f16 v7, v27, v7 op_sel_hi:[0,1]
	v_pk_fma_f16 v9, v37, s6, v9 op_sel_hi:[0,1,1]
	s_mov_b32 s7, 0xbbad36a6
	v_pk_add_f16 v7, v7, v9
	s_mov_b32 s6, 0x34823b47
	v_pk_mul_f16 v9, v38, s7 op_sel_hi:[0,1]
	v_pk_fma_f16 v9, v39, s6, v9 op_sel_hi:[0,1,1]
	s_mov_b32 s7, 0xb08e3abb
	v_pk_add_f16 v7, v7, v9
	s_mov_b32 s6, 0x3bebb853
	v_pk_mul_f16 v9, v40, s7 op_sel_hi:[0,1]
	;; [unrolled: 5-line block ×3, first 2 shown]
	v_pk_fma_f16 v9, v43, s6, v9 op_sel_hi:[0,1,1]
	v_pk_add_f16 v7, v7, v9
	v_add_f16_e32 v32, v32, v33
	ds_write_b32 v10, v7 offset:16
	ds_write_b16 v10, v32 offset:20
.LBB0_14:
	s_or_b64 exec, exec, s[4:5]
	v_lshlrev_b32_e32 v9, 1, v5
	v_add3_u32 v7, 0, v0, v9
	v_add_u32_e32 v37, 0, v9
	s_waitcnt lgkmcnt(0)
	s_barrier
	v_add_u32_e32 v9, v37, v0
	ds_read_u16 v10, v7
	ds_read_u16 v36, v9 offset:154
	ds_read_u16 v35, v9 offset:308
	;; [unrolled: 1-line block ×6, first 2 shown]
	s_waitcnt lgkmcnt(0)
	s_barrier
	s_and_saveexec_b64 s[4:5], s[0:1]
	s_cbranch_execz .LBB0_16
; %bb.15:
	v_add_f16_e32 v38, v8, v29
	v_add_f16_e32 v38, v38, v26
	;; [unrolled: 1-line block ×9, first 2 shown]
	v_sub_f16_e32 v16, v16, v28
	v_add_f16_e32 v38, v31, v38
	v_add_f16_e32 v29, v29, v31
	s_mov_b32 s0, 0xbbad
	v_mul_f16_e32 v31, 0xb482, v16
	v_sub_f16_e32 v15, v15, v22
	v_fma_f16 v39, v29, s0, v31
	v_add_f16_e32 v26, v26, v30
	s_movk_i32 s0, 0x3abb
	v_mul_f16_e32 v30, 0x3853, v15
	v_sub_f16_e32 v14, v14, v18
	v_add_f16_e32 v39, v8, v39
	v_fma_f16 v40, v26, s0, v30
	v_add_f16_e32 v24, v24, v25
	s_mov_b32 s1, 0xb93d
	v_mul_f16_e32 v25, 0xba0c, v14
	v_sub_f16_e32 v12, v12, v17
	s_mov_b32 s8, 0xbb47b853
	v_add_f16_e32 v39, v39, v40
	v_fma_f16 v40, v24, s1, v25
	v_add_f16_e32 v21, v21, v23
	s_movk_i32 s6, 0x36a6
	v_mul_f16_e32 v23, 0x3b47, v12
	v_sub_f16_e32 v11, v11, v13
	s_mov_b32 s7, 0x36a63abb
	v_pk_mul_f16 v13, v16, s8 op_sel_hi:[0,1]
	v_add_f16_e32 v39, v39, v40
	v_fma_f16 v40, v21, s6, v23
	v_add_f16_e32 v19, v19, v20
	v_fma_f16 v20, v29, s0, -v13
	v_pk_fma_f16 v13, v29, s7, v13 op_sel_hi:[0,1,1]
	s_mov_b32 s7, 0xba0cbb47
	v_add_f16_e32 v39, v39, v40
	s_mov_b32 s0, 0xb93d36a6
	v_pk_mul_f16 v40, v15, s7 op_sel_hi:[0,1]
	v_pk_add_f16 v13, v8, v13 op_sel_hi:[0,1]
	v_fma_f16 v41, v26, s6, -v40
	v_pk_fma_f16 v40, v26, s0, v40 op_sel_hi:[0,1,1]
	s_mov_b32 s6, 0x3482bbeb
	v_add_f16_e32 v20, v8, v20
	v_pk_add_f16 v13, v13, v40
	s_mov_b32 s0, 0xbbadb08e
	v_pk_mul_f16 v40, v14, s6 op_sel_hi:[0,1]
	s_mov_b32 s6, 0xb08e
	v_add_f16_e32 v20, v20, v41
	v_fma_f16 v41, v24, s6, -v40
	v_pk_fma_f16 v40, v24, s0, v40 op_sel_hi:[0,1,1]
	s_mov_b32 s7, 0x3bebba0c
	v_pk_add_f16 v13, v13, v40
	s_mov_b32 s0, 0xb08eb93d
	v_pk_mul_f16 v40, v12, s7 op_sel_hi:[0,1]
	v_add_f16_e32 v20, v20, v41
	v_fma_f16 v41, v21, s1, -v40
	v_pk_fma_f16 v40, v21, s0, v40 op_sel_hi:[0,1,1]
	s_mov_b32 s0, 0x3abbbbad
	s_mov_b32 s1, 0x3853b482
	v_add_f16_e32 v20, v20, v41
	v_pk_add_f16 v13, v13, v40
	v_pk_mul_f16 v40, v19, s0 op_sel_hi:[0,1]
	v_pk_mul_f16 v41, v11, s1 op_sel_hi:[0,1]
	s_mov_b32 s1, 0xba0cbbeb
	v_pk_fma_f16 v42, v19, s0, v41 op_sel_hi:[0,1,1]
	v_sub_f16_e32 v40, v40, v41
	s_mov_b32 s0, 0xb93db08e
	v_pk_mul_f16 v41, v16, s1 op_sel_hi:[0,1]
	s_mov_b32 s1, 0x3beb3482
	v_add_f16_e32 v20, v20, v40
	v_pk_add_f16 v40, v13, v42
	v_pk_mul_f16 v13, v29, s0 op_sel_hi:[0,1]
	v_pk_fma_f16 v42, v29, s0, v41 op_sel_hi:[0,1,1]
	s_mov_b32 s0, 0xb08ebbad
	v_pk_mul_f16 v44, v15, s1 op_sel_hi:[0,1]
	s_mov_b32 s1, 0xb8533b47
	v_pk_add_f16 v42, v8, v42 op_sel_hi:[0,1]
	v_pk_mul_f16 v43, v26, s0 op_sel_hi:[0,1]
	v_pk_fma_f16 v45, v26, s0, v44 op_sel_hi:[0,1,1]
	s_mov_b32 s0, 0x3abb36a6
	v_pk_mul_f16 v46, v14, s1 op_sel_hi:[0,1]
	s_mov_b32 s1, 0xb482b853
	v_pk_add_f16 v42, v42, v45
	v_pk_mul_f16 v45, v24, s0 op_sel_hi:[0,1]
	v_pk_fma_f16 v47, v24, s0, v46 op_sel_hi:[0,1,1]
	s_mov_b32 s0, 0xbbad3abb
	v_pk_mul_f16 v48, v12, s1 op_sel_hi:[0,1]
	s_mov_b32 s1, 0x3b47ba0c
	v_pk_add_f16 v42, v42, v47
	;; [unrolled: 6-line block ×3, first 2 shown]
	v_pk_mul_f16 v49, v19, s0 op_sel_hi:[0,1]
	v_pk_fma_f16 v51, v19, s0, v50 op_sel_hi:[0,1,1]
	s_mov_b32 s0, 0x36a6b08e
	v_pk_mul_f16 v16, v16, s1 op_sel_hi:[0,1]
	s_mov_b32 s1, 0x3a0cb482
	v_pk_fma_f16 v16, v29, s0, v16 op_sel_hi:[0,1,1]
	s_mov_b32 s0, 0xb93dbbad
	v_pk_mul_f16 v15, v15, s1 op_sel_hi:[0,1]
	s_mov_b32 s1, 0xb482bb47
	v_pk_add_f16 v16, v8, v16 op_sel_hi:[0,1]
	v_pk_fma_f16 v15, v26, s0, v15 op_sel_hi:[0,1,1]
	s_mov_b32 s0, 0xbbad36a6
	v_pk_mul_f16 v14, v14, s1 op_sel_hi:[0,1]
	s_mov_b32 s1, 0xbbeb3853
	v_pk_add_f16 v15, v16, v15
	v_pk_fma_f16 v14, v24, s0, v14 op_sel_hi:[0,1,1]
	s_mov_b32 s0, 0xb08e3abb
	v_pk_mul_f16 v12, v12, s1 op_sel_hi:[0,1]
	v_pk_add_f16 v14, v15, v14
	v_pk_fma_f16 v12, v21, s0, v12 op_sel_hi:[0,1,1]
	s_mov_b32 s1, 0xb8533a0c
	v_pk_add_f16 v12, v14, v12
	s_mov_b32 s0, 0x3abbb93d
	v_pk_mul_f16 v14, v11, s1 op_sel_hi:[0,1]
	v_mul_f16_e32 v28, 0xbbad, v29
	v_pk_fma_f16 v14, v19, s0, v14 op_sel_hi:[0,1,1]
	v_mul_f16_e32 v11, 0xbbeb, v11
	s_mov_b32 s0, 0xffff
	v_pk_add_f16 v15, v12, v14
	v_mul_f16_e32 v14, 0xb08e, v19
	v_fma_f16 v16, v19, s6, v11
	v_bfi_b32 v13, s0, v28, v13
	v_bfi_b32 v19, s0, v31, v41
	v_mul_f16_e32 v22, 0x3abb, v26
	v_pk_add_f16 v13, v13, v19 neg_lo:[0,1] neg_hi:[0,1]
	v_pk_add_f16 v8, v8, v13 op_sel_hi:[0,1]
	v_bfi_b32 v13, s0, v22, v43
	v_bfi_b32 v19, s0, v30, v44
	v_mul_f16_e32 v18, 0xb93d, v24
	v_pk_add_f16 v13, v13, v19 neg_lo:[0,1] neg_hi:[0,1]
	v_pk_add_f16 v8, v8, v13
	v_bfi_b32 v13, s0, v18, v45
	v_bfi_b32 v18, s0, v25, v46
	v_mul_f16_e32 v17, 0x36a6, v21
	v_pk_add_f16 v13, v13, v18 neg_lo:[0,1] neg_hi:[0,1]
	v_pk_add_f16 v8, v8, v13
	v_bfi_b32 v13, s0, v17, v47
	v_bfi_b32 v17, s0, v23, v48
	v_pk_add_f16 v13, v13, v17 neg_lo:[0,1] neg_hi:[0,1]
	v_pk_add_f16 v8, v8, v13
	v_bfi_b32 v13, s0, v14, v49
	v_bfi_b32 v11, s0, v11, v50
	v_pk_add_f16 v11, v13, v11 neg_lo:[0,1] neg_hi:[0,1]
	v_pk_add_f16 v12, v42, v51
	v_add_f16_e32 v16, v39, v16
	v_pk_add_f16 v14, v8, v11
	v_mul_u32_u24_e32 v8, 20, v5
	v_add3_u32 v8, v37, v8, v0
	v_alignbit_b32 v13, v16, v12, 16
	v_alignbit_b32 v12, v12, v40, 16
	v_pack_b32_f16 v11, v38, v40
	ds_write_b128 v8, v[11:14]
	ds_write_b32 v8, v15 offset:16
	ds_write_b16 v8, v20 offset:20
.LBB0_16:
	s_or_b64 exec, exec, s[4:5]
	s_movk_i32 s0, 0x75
	v_mul_lo_u16_sdwa v8, v5, s0 dst_sel:DWORD dst_unused:UNUSED_PAD src0_sel:BYTE_0 src1_sel:DWORD
	v_sub_u16_sdwa v11, v5, v8 dst_sel:DWORD dst_unused:UNUSED_PAD src0_sel:DWORD src1_sel:BYTE_1
	v_lshrrev_b16_e32 v11, 1, v11
	v_and_b32_e32 v11, 0x7f, v11
	v_add_u16_sdwa v8, v11, v8 dst_sel:DWORD dst_unused:UNUSED_PAD src0_sel:DWORD src1_sel:BYTE_1
	v_lshrrev_b16_e32 v8, 3, v8
	v_mul_lo_u16_e32 v11, 11, v8
	v_sub_u16_e32 v17, v5, v11
	v_mov_b32_e32 v11, 6
	v_mul_u32_u24_sdwa v11, v17, v11 dst_sel:DWORD dst_unused:UNUSED_PAD src0_sel:BYTE_0 src1_sel:DWORD
	v_lshlrev_b32_e32 v18, 2, v11
	s_waitcnt lgkmcnt(0)
	s_barrier
	global_load_dwordx4 v[11:14], v18, s[12:13]
	global_load_dwordx2 v[15:16], v18, s[12:13] offset:16
	ds_read_u16 v18, v7
	ds_read_u16 v19, v9 offset:154
	ds_read_u16 v20, v9 offset:308
	;; [unrolled: 1-line block ×6, first 2 shown]
	s_movk_i32 s5, 0x2b26
	s_mov_b32 s4, 0xbcab
	s_mov_b32 s6, 0xb9e0
	s_movk_i32 s9, 0x3574
	s_mov_b32 s7, 0xb574
	s_movk_i32 s8, 0x370e
	s_movk_i32 s0, 0x3b00
	s_movk_i32 s14, 0x9a
	v_mad_u32_u24 v8, v8, s14, 0
	s_waitcnt vmcnt(0) lgkmcnt(0)
	s_barrier
	s_movk_i32 s1, 0x3a52
	v_mul_f16_sdwa v25, v19, v11 dst_sel:DWORD dst_unused:UNUSED_PAD src0_sel:DWORD src1_sel:WORD_1
	v_mul_f16_sdwa v26, v36, v11 dst_sel:DWORD dst_unused:UNUSED_PAD src0_sel:DWORD src1_sel:WORD_1
	;; [unrolled: 1-line block ×12, first 2 shown]
	v_fma_f16 v25, v36, v11, -v25
	v_fma_f16 v11, v19, v11, v26
	v_fma_f16 v19, v35, v12, -v28
	v_fma_f16 v12, v20, v12, v29
	v_fma_f16 v20, v34, v13, -v30
	v_fma_f16 v13, v21, v13, v31
	v_fma_f16 v21, v33, v14, -v37
	v_fma_f16 v14, v22, v14, v38
	v_fma_f16 v22, v32, v15, -v39
	v_fma_f16 v15, v23, v15, v40
	v_fma_f16 v23, v27, v16, -v41
	v_fma_f16 v16, v24, v16, v42
	v_add_f16_e32 v24, v25, v23
	v_add_f16_e32 v26, v11, v16
	v_sub_f16_e32 v23, v25, v23
	v_sub_f16_e32 v11, v11, v16
	v_add_f16_e32 v16, v19, v22
	v_add_f16_e32 v25, v12, v15
	v_sub_f16_e32 v19, v19, v22
	v_sub_f16_e32 v12, v12, v15
	;; [unrolled: 4-line block ×4, first 2 shown]
	v_sub_f16_e32 v24, v24, v15
	v_sub_f16_e32 v26, v26, v22
	v_add_f16_e32 v29, v20, v19
	v_sub_f16_e32 v16, v15, v16
	v_sub_f16_e32 v25, v22, v25
	;; [unrolled: 1-line block ×5, first 2 shown]
	v_add_f16_e32 v14, v15, v14
	v_add_f16_e32 v15, v22, v21
	;; [unrolled: 1-line block ×3, first 2 shown]
	v_mul_f16_e32 v22, 0x3a52, v24
	v_mul_f16_e32 v23, 0x3a52, v26
	v_add_f16_e32 v30, v13, v12
	v_sub_f16_e32 v32, v13, v12
	v_mul_f16_e32 v24, 0x2b26, v16
	v_mul_f16_e32 v26, 0x2b26, v25
	;; [unrolled: 1-line block ×4, first 2 shown]
	v_add_f16_e32 v18, v18, v15
	v_fma_f16 v16, v16, s5, v22
	v_fma_f16 v25, v25, s5, v23
	s_movk_i32 s5, 0x39e0
	v_sub_f16_e32 v13, v11, v13
	v_sub_f16_e32 v12, v12, v11
	v_add_f16_e32 v11, v30, v11
	v_mul_f16_e32 v30, 0xb846, v32
	v_fma_f16 v15, v15, s4, v18
	v_fma_f16 v24, v27, s5, -v24
	v_fma_f16 v26, v28, s5, -v26
	;; [unrolled: 1-line block ×4, first 2 shown]
	v_fma_f16 v27, v20, s9, v29
	v_fma_f16 v20, v20, s7, -v31
	v_mul_f16_e32 v32, 0x3b00, v12
	v_add_f16_e32 v10, v10, v14
	v_fma_f16 v28, v13, s9, v30
	v_add_f16_e32 v25, v25, v15
	v_add_f16_e32 v26, v26, v15
	;; [unrolled: 1-line block ×3, first 2 shown]
	v_fma_f16 v20, v21, s8, v20
	v_fma_f16 v14, v14, s4, v10
	v_fma_f16 v12, v12, s0, -v30
	v_fma_f16 v13, v13, s7, -v32
	v_fma_f16 v23, v11, s8, v28
	v_sub_f16_e32 v28, v15, v20
	v_add_f16_e32 v15, v20, v15
	v_mov_b32_e32 v20, 1
	v_add_f16_e32 v16, v16, v14
	v_add_f16_e32 v24, v24, v14
	;; [unrolled: 1-line block ×3, first 2 shown]
	v_fma_f16 v12, v11, s8, v12
	v_fma_f16 v11, v11, s8, v13
	v_lshlrev_b32_sdwa v17, v20, v17 dst_sel:DWORD dst_unused:UNUSED_PAD src0_sel:DWORD src1_sel:BYTE_0
	v_fma_f16 v19, v19, s0, -v29
	v_fma_f16 v22, v21, s8, v27
	v_add_f16_e32 v13, v23, v16
	v_add_f16_e32 v27, v11, v14
	v_sub_f16_e32 v29, v24, v12
	v_add_f16_e32 v12, v12, v24
	v_sub_f16_e32 v11, v14, v11
	v_sub_f16_e32 v14, v16, v23
	v_add3_u32 v17, v8, v17, v0
	ds_write_b16 v17, v10
	ds_write_b16 v17, v13 offset:22
	ds_write_b16 v17, v27 offset:44
	ds_write_b16 v17, v29 offset:66
	ds_write_b16 v17, v12 offset:88
	ds_write_b16 v17, v11 offset:110
	ds_write_b16 v17, v14 offset:132
	s_waitcnt lgkmcnt(0)
	s_barrier
	ds_read_u16 v0, v7
	ds_read_u16 v12, v9 offset:154
	ds_read_u16 v8, v9 offset:308
	ds_read_u16 v10, v9 offset:462
	ds_read_u16 v13, v9 offset:616
	ds_read_u16 v11, v9 offset:770
	ds_read_u16 v14, v9 offset:924
	v_fma_f16 v19, v21, s8, v19
	v_sub_f16_e32 v21, v25, v22
	v_add_f16_e32 v30, v19, v26
	v_sub_f16_e32 v19, v26, v19
	v_add_f16_e32 v16, v22, v25
	s_waitcnt lgkmcnt(0)
	s_barrier
	ds_write_b16 v17, v18
	ds_write_b16 v17, v21 offset:22
	ds_write_b16 v17, v28 offset:44
	;; [unrolled: 1-line block ×6, first 2 shown]
	s_waitcnt lgkmcnt(0)
	s_barrier
	s_and_saveexec_b64 s[14:15], vcc
	s_cbranch_execz .LBB0_18
; %bb.17:
	v_mul_u32_u24_e32 v5, 6, v5
	v_lshlrev_b32_e32 v5, 2, v5
	global_load_dwordx4 v[15:18], v5, s[12:13] offset:264
	global_load_dwordx2 v[19:20], v5, s[12:13] offset:280
	v_mul_lo_u32 v5, s3, v3
	v_mul_lo_u32 v21, s2, v4
	v_mad_u64_u32 v[3:4], s[2:3], s2, v3, 0
	ds_read_u16 v22, v9 offset:154
	ds_read_u16 v23, v9 offset:924
	;; [unrolled: 1-line block ×6, first 2 shown]
	ds_read_u16 v7, v7
	v_add3_u32 v4, v4, v21, v5
	v_lshlrev_b64 v[3:4], 2, v[3:4]
	v_add_co_u32_e32 v3, vcc, s10, v3
	s_waitcnt vmcnt(1) lgkmcnt(6)
	v_mul_f16_sdwa v5, v22, v15 dst_sel:DWORD dst_unused:UNUSED_PAD src0_sel:DWORD src1_sel:WORD_1
	s_waitcnt vmcnt(0) lgkmcnt(5)
	v_mul_f16_sdwa v21, v23, v20 dst_sel:DWORD dst_unused:UNUSED_PAD src0_sel:DWORD src1_sel:WORD_1
	s_waitcnt lgkmcnt(3)
	v_mul_f16_sdwa v27, v25, v18 dst_sel:DWORD dst_unused:UNUSED_PAD src0_sel:DWORD src1_sel:WORD_1
	s_waitcnt lgkmcnt(2)
	;; [unrolled: 2-line block ×3, first 2 shown]
	v_mul_f16_sdwa v29, v9, v16 dst_sel:DWORD dst_unused:UNUSED_PAD src0_sel:DWORD src1_sel:WORD_1
	v_mul_f16_sdwa v30, v24, v19 dst_sel:DWORD dst_unused:UNUSED_PAD src0_sel:DWORD src1_sel:WORD_1
	;; [unrolled: 1-line block ×8, first 2 shown]
	v_fma_f16 v5, v12, v15, -v5
	v_fma_f16 v12, v14, v20, -v21
	;; [unrolled: 1-line block ×6, first 2 shown]
	v_fma_f16 v14, v20, v23, v31
	v_fma_f16 v15, v15, v22, v32
	;; [unrolled: 1-line block ×6, first 2 shown]
	v_sub_f16_e32 v16, v5, v12
	v_sub_f16_e32 v20, v13, v10
	;; [unrolled: 1-line block ×3, first 2 shown]
	v_add_f16_e32 v22, v15, v14
	v_add_f16_e32 v24, v9, v19
	;; [unrolled: 1-line block ×6, first 2 shown]
	v_sub_f16_e32 v12, v18, v17
	v_sub_f16_e32 v9, v9, v19
	v_add_f16_e32 v19, v22, v24
	v_sub_f16_e32 v25, v10, v8
	v_add_f16_e32 v26, v5, v8
	v_sub_f16_e32 v11, v15, v14
	v_sub_f16_e32 v13, v16, v20
	v_sub_f16_e32 v14, v20, v21
	v_add_f16_e32 v15, v20, v21
	v_sub_f16_e32 v17, v22, v23
	v_sub_f16_e32 v20, v5, v10
	;; [unrolled: 1-line block ×4, first 2 shown]
	v_add_f16_e32 v19, v23, v19
	v_mul_f16_e32 v25, 0x2b26, v25
	v_add_f16_e32 v10, v10, v26
	v_sub_f16_e32 v18, v23, v24
	v_sub_f16_e32 v27, v11, v12
	v_add_f16_e32 v12, v12, v9
	v_mul_f16_e32 v14, 0xb846, v14
	v_add_f16_e32 v15, v16, v15
	v_mul_f16_e32 v16, 0x3a52, v17
	v_mul_f16_e32 v23, 0x3a52, v20
	;; [unrolled: 1-line block ×4, first 2 shown]
	s_waitcnt lgkmcnt(0)
	v_add_f16_e32 v30, v7, v19
	v_fma_f16 v7, v20, s1, v25
	v_add_f16_e32 v20, v0, v10
	v_sub_f16_e32 v22, v24, v22
	v_sub_f16_e32 v5, v8, v5
	;; [unrolled: 1-line block ×3, first 2 shown]
	v_add_f16_e32 v12, v11, v12
	v_fma_f16 v29, v13, s9, v14
	v_fma_f16 v0, v27, s9, v26
	v_fma_f16 v13, v13, s7, -v28
	v_fma_f16 v19, v19, s4, v30
	v_fma_f16 v10, v10, s4, v20
	v_fma_f16 v16, v22, s6, -v16
	v_fma_f16 v8, v5, s6, -v23
	v_mul_f16_e32 v11, 0x3b00, v9
	v_fma_f16 v9, v9, s0, -v26
	v_fma_f16 v5, v5, s5, -v25
	v_fma_f16 v0, v12, s8, v0
	v_add_f16_e32 v7, v7, v10
	v_fma_f16 v13, v15, s8, v13
	v_add_f16_e32 v16, v16, v19
	;; [unrolled: 2-line block ×3, first 2 shown]
	v_sub_f16_e32 v31, v7, v0
	v_add_f16_e32 v24, v13, v16
	v_add_f16_e32 v8, v8, v10
	;; [unrolled: 1-line block ×3, first 2 shown]
	v_sub_f16_e32 v5, v5, v9
	v_sub_f16_e32 v9, v16, v13
	v_add_f16_e32 v13, v0, v7
	v_mov_b32_e32 v0, s11
	v_addc_co_u32_e32 v4, vcc, v0, v4, vcc
	v_lshlrev_b64 v[0:1], 2, v[1:2]
	v_mov_b32_e32 v7, 0
	v_add_co_u32_e32 v2, vcc, v3, v0
	v_mul_f16_e32 v18, 0x2b26, v18
	v_addc_co_u32_e32 v3, vcc, v4, v1, vcc
	v_lshlrev_b64 v[0:1], 2, v[6:7]
	v_fma_f16 v17, v17, s1, v18
	v_fma_f16 v11, v27, s7, -v11
	v_fma_f16 v28, v15, s8, v29
	v_add_f16_e32 v17, v17, v19
	v_fma_f16 v11, v12, s8, v11
	v_add_co_u32_e32 v0, vcc, v2, v0
	v_sub_f16_e32 v23, v8, v11
	v_fma_f16 v18, v22, s5, -v18
	v_fma_f16 v14, v21, s0, -v14
	v_add_f16_e32 v8, v11, v8
	v_sub_f16_e32 v11, v17, v28
	v_addc_co_u32_e32 v1, vcc, v3, v1, vcc
	v_pack_b32_f16 v2, v20, v30
	v_add_f16_e32 v18, v18, v19
	v_fma_f16 v14, v15, s8, v14
	global_store_dword v[0:1], v2, off
	v_pack_b32_f16 v2, v13, v11
	v_add_f16_e32 v12, v14, v18
	global_store_dword v[0:1], v2, off offset:308
	v_pack_b32_f16 v2, v8, v9
	v_sub_f16_e32 v15, v18, v14
	global_store_dword v[0:1], v2, off offset:616
	v_pack_b32_f16 v2, v5, v12
	global_store_dword v[0:1], v2, off offset:924
	v_pack_b32_f16 v2, v10, v15
	v_add_f16_e32 v29, v28, v17
	global_store_dword v[0:1], v2, off offset:1232
	v_pack_b32_f16 v2, v23, v24
	global_store_dword v[0:1], v2, off offset:1540
	v_pack_b32_f16 v2, v31, v29
	global_store_dword v[0:1], v2, off offset:1848
.LBB0_18:
	s_endpgm
	.section	.rodata,"a",@progbits
	.p2align	6, 0x0
	.amdhsa_kernel fft_rtc_fwd_len539_factors_11_7_7_wgs_231_tpt_77_halfLds_half_op_CI_CI_unitstride_sbrr_dirReg
		.amdhsa_group_segment_fixed_size 0
		.amdhsa_private_segment_fixed_size 0
		.amdhsa_kernarg_size 104
		.amdhsa_user_sgpr_count 6
		.amdhsa_user_sgpr_private_segment_buffer 1
		.amdhsa_user_sgpr_dispatch_ptr 0
		.amdhsa_user_sgpr_queue_ptr 0
		.amdhsa_user_sgpr_kernarg_segment_ptr 1
		.amdhsa_user_sgpr_dispatch_id 0
		.amdhsa_user_sgpr_flat_scratch_init 0
		.amdhsa_user_sgpr_private_segment_size 0
		.amdhsa_uses_dynamic_stack 0
		.amdhsa_system_sgpr_private_segment_wavefront_offset 0
		.amdhsa_system_sgpr_workgroup_id_x 1
		.amdhsa_system_sgpr_workgroup_id_y 0
		.amdhsa_system_sgpr_workgroup_id_z 0
		.amdhsa_system_sgpr_workgroup_info 0
		.amdhsa_system_vgpr_workitem_id 0
		.amdhsa_next_free_vgpr 58
		.amdhsa_next_free_sgpr 28
		.amdhsa_reserve_vcc 1
		.amdhsa_reserve_flat_scratch 0
		.amdhsa_float_round_mode_32 0
		.amdhsa_float_round_mode_16_64 0
		.amdhsa_float_denorm_mode_32 3
		.amdhsa_float_denorm_mode_16_64 3
		.amdhsa_dx10_clamp 1
		.amdhsa_ieee_mode 1
		.amdhsa_fp16_overflow 0
		.amdhsa_exception_fp_ieee_invalid_op 0
		.amdhsa_exception_fp_denorm_src 0
		.amdhsa_exception_fp_ieee_div_zero 0
		.amdhsa_exception_fp_ieee_overflow 0
		.amdhsa_exception_fp_ieee_underflow 0
		.amdhsa_exception_fp_ieee_inexact 0
		.amdhsa_exception_int_div_zero 0
	.end_amdhsa_kernel
	.text
.Lfunc_end0:
	.size	fft_rtc_fwd_len539_factors_11_7_7_wgs_231_tpt_77_halfLds_half_op_CI_CI_unitstride_sbrr_dirReg, .Lfunc_end0-fft_rtc_fwd_len539_factors_11_7_7_wgs_231_tpt_77_halfLds_half_op_CI_CI_unitstride_sbrr_dirReg
                                        ; -- End function
	.section	.AMDGPU.csdata,"",@progbits
; Kernel info:
; codeLenInByte = 6048
; NumSgprs: 32
; NumVgprs: 58
; ScratchSize: 0
; MemoryBound: 0
; FloatMode: 240
; IeeeMode: 1
; LDSByteSize: 0 bytes/workgroup (compile time only)
; SGPRBlocks: 3
; VGPRBlocks: 14
; NumSGPRsForWavesPerEU: 32
; NumVGPRsForWavesPerEU: 58
; Occupancy: 4
; WaveLimiterHint : 1
; COMPUTE_PGM_RSRC2:SCRATCH_EN: 0
; COMPUTE_PGM_RSRC2:USER_SGPR: 6
; COMPUTE_PGM_RSRC2:TRAP_HANDLER: 0
; COMPUTE_PGM_RSRC2:TGID_X_EN: 1
; COMPUTE_PGM_RSRC2:TGID_Y_EN: 0
; COMPUTE_PGM_RSRC2:TGID_Z_EN: 0
; COMPUTE_PGM_RSRC2:TIDIG_COMP_CNT: 0
	.type	__hip_cuid_81c097bf3111fd38,@object ; @__hip_cuid_81c097bf3111fd38
	.section	.bss,"aw",@nobits
	.globl	__hip_cuid_81c097bf3111fd38
__hip_cuid_81c097bf3111fd38:
	.byte	0                               ; 0x0
	.size	__hip_cuid_81c097bf3111fd38, 1

	.ident	"AMD clang version 19.0.0git (https://github.com/RadeonOpenCompute/llvm-project roc-6.4.0 25133 c7fe45cf4b819c5991fe208aaa96edf142730f1d)"
	.section	".note.GNU-stack","",@progbits
	.addrsig
	.addrsig_sym __hip_cuid_81c097bf3111fd38
	.amdgpu_metadata
---
amdhsa.kernels:
  - .args:
      - .actual_access:  read_only
        .address_space:  global
        .offset:         0
        .size:           8
        .value_kind:     global_buffer
      - .offset:         8
        .size:           8
        .value_kind:     by_value
      - .actual_access:  read_only
        .address_space:  global
        .offset:         16
        .size:           8
        .value_kind:     global_buffer
      - .actual_access:  read_only
        .address_space:  global
        .offset:         24
        .size:           8
        .value_kind:     global_buffer
      - .actual_access:  read_only
        .address_space:  global
        .offset:         32
        .size:           8
        .value_kind:     global_buffer
      - .offset:         40
        .size:           8
        .value_kind:     by_value
      - .actual_access:  read_only
        .address_space:  global
        .offset:         48
        .size:           8
        .value_kind:     global_buffer
      - .actual_access:  read_only
        .address_space:  global
        .offset:         56
        .size:           8
        .value_kind:     global_buffer
      - .offset:         64
        .size:           4
        .value_kind:     by_value
      - .actual_access:  read_only
        .address_space:  global
        .offset:         72
        .size:           8
        .value_kind:     global_buffer
      - .actual_access:  read_only
        .address_space:  global
        .offset:         80
        .size:           8
        .value_kind:     global_buffer
      - .actual_access:  read_only
        .address_space:  global
        .offset:         88
        .size:           8
        .value_kind:     global_buffer
      - .actual_access:  write_only
        .address_space:  global
        .offset:         96
        .size:           8
        .value_kind:     global_buffer
    .group_segment_fixed_size: 0
    .kernarg_segment_align: 8
    .kernarg_segment_size: 104
    .language:       OpenCL C
    .language_version:
      - 2
      - 0
    .max_flat_workgroup_size: 231
    .name:           fft_rtc_fwd_len539_factors_11_7_7_wgs_231_tpt_77_halfLds_half_op_CI_CI_unitstride_sbrr_dirReg
    .private_segment_fixed_size: 0
    .sgpr_count:     32
    .sgpr_spill_count: 0
    .symbol:         fft_rtc_fwd_len539_factors_11_7_7_wgs_231_tpt_77_halfLds_half_op_CI_CI_unitstride_sbrr_dirReg.kd
    .uniform_work_group_size: 1
    .uses_dynamic_stack: false
    .vgpr_count:     58
    .vgpr_spill_count: 0
    .wavefront_size: 64
amdhsa.target:   amdgcn-amd-amdhsa--gfx906
amdhsa.version:
  - 1
  - 2
...

	.end_amdgpu_metadata
